;; amdgpu-corpus repo=ROCm/rocFFT kind=compiled arch=gfx1030 opt=O3
	.text
	.amdgcn_target "amdgcn-amd-amdhsa--gfx1030"
	.amdhsa_code_object_version 6
	.protected	fft_rtc_back_len1134_factors_2_3_3_3_3_7_wgs_126_tpt_126_dp_ip_CI_unitstride_sbrr_dirReg ; -- Begin function fft_rtc_back_len1134_factors_2_3_3_3_3_7_wgs_126_tpt_126_dp_ip_CI_unitstride_sbrr_dirReg
	.globl	fft_rtc_back_len1134_factors_2_3_3_3_3_7_wgs_126_tpt_126_dp_ip_CI_unitstride_sbrr_dirReg
	.p2align	8
	.type	fft_rtc_back_len1134_factors_2_3_3_3_3_7_wgs_126_tpt_126_dp_ip_CI_unitstride_sbrr_dirReg,@function
fft_rtc_back_len1134_factors_2_3_3_3_3_7_wgs_126_tpt_126_dp_ip_CI_unitstride_sbrr_dirReg: ; @fft_rtc_back_len1134_factors_2_3_3_3_3_7_wgs_126_tpt_126_dp_ip_CI_unitstride_sbrr_dirReg
; %bb.0:
	s_clause 0x2
	s_load_dwordx4 s[8:11], s[4:5], 0x0
	s_load_dwordx2 s[2:3], s[4:5], 0x50
	s_load_dwordx2 s[12:13], s[4:5], 0x18
	v_mul_u32_u24_e32 v1, 0x209, v0
	v_mov_b32_e32 v3, 0
	v_add_nc_u32_sdwa v5, s6, v1 dst_sel:DWORD dst_unused:UNUSED_PAD src0_sel:DWORD src1_sel:WORD_1
	v_mov_b32_e32 v1, 0
	v_mov_b32_e32 v6, v3
	v_mov_b32_e32 v2, 0
	s_waitcnt lgkmcnt(0)
	v_cmp_lt_u64_e64 s0, s[10:11], 2
	s_and_b32 vcc_lo, exec_lo, s0
	s_cbranch_vccnz .LBB0_8
; %bb.1:
	s_load_dwordx2 s[0:1], s[4:5], 0x10
	v_mov_b32_e32 v1, 0
	s_add_u32 s6, s12, 8
	v_mov_b32_e32 v2, 0
	s_addc_u32 s7, s13, 0
	s_mov_b64 s[16:17], 1
	s_waitcnt lgkmcnt(0)
	s_add_u32 s14, s0, 8
	s_addc_u32 s15, s1, 0
.LBB0_2:                                ; =>This Inner Loop Header: Depth=1
	s_load_dwordx2 s[18:19], s[14:15], 0x0
                                        ; implicit-def: $vgpr7_vgpr8
	s_mov_b32 s0, exec_lo
	s_waitcnt lgkmcnt(0)
	v_or_b32_e32 v4, s19, v6
	v_cmpx_ne_u64_e32 0, v[3:4]
	s_xor_b32 s1, exec_lo, s0
	s_cbranch_execz .LBB0_4
; %bb.3:                                ;   in Loop: Header=BB0_2 Depth=1
	v_cvt_f32_u32_e32 v4, s18
	v_cvt_f32_u32_e32 v7, s19
	s_sub_u32 s0, 0, s18
	s_subb_u32 s20, 0, s19
	v_fmac_f32_e32 v4, 0x4f800000, v7
	v_rcp_f32_e32 v4, v4
	v_mul_f32_e32 v4, 0x5f7ffffc, v4
	v_mul_f32_e32 v7, 0x2f800000, v4
	v_trunc_f32_e32 v7, v7
	v_fmac_f32_e32 v4, 0xcf800000, v7
	v_cvt_u32_f32_e32 v7, v7
	v_cvt_u32_f32_e32 v4, v4
	v_mul_lo_u32 v8, s0, v7
	v_mul_hi_u32 v9, s0, v4
	v_mul_lo_u32 v10, s20, v4
	v_add_nc_u32_e32 v8, v9, v8
	v_mul_lo_u32 v9, s0, v4
	v_add_nc_u32_e32 v8, v8, v10
	v_mul_hi_u32 v10, v4, v9
	v_mul_lo_u32 v11, v4, v8
	v_mul_hi_u32 v12, v4, v8
	v_mul_hi_u32 v13, v7, v9
	v_mul_lo_u32 v9, v7, v9
	v_mul_hi_u32 v14, v7, v8
	v_mul_lo_u32 v8, v7, v8
	v_add_co_u32 v10, vcc_lo, v10, v11
	v_add_co_ci_u32_e32 v11, vcc_lo, 0, v12, vcc_lo
	v_add_co_u32 v9, vcc_lo, v10, v9
	v_add_co_ci_u32_e32 v9, vcc_lo, v11, v13, vcc_lo
	v_add_co_ci_u32_e32 v10, vcc_lo, 0, v14, vcc_lo
	v_add_co_u32 v8, vcc_lo, v9, v8
	v_add_co_ci_u32_e32 v9, vcc_lo, 0, v10, vcc_lo
	v_add_co_u32 v4, vcc_lo, v4, v8
	v_add_co_ci_u32_e32 v7, vcc_lo, v7, v9, vcc_lo
	v_mul_hi_u32 v8, s0, v4
	v_mul_lo_u32 v10, s20, v4
	v_mul_lo_u32 v9, s0, v7
	v_add_nc_u32_e32 v8, v8, v9
	v_mul_lo_u32 v9, s0, v4
	v_add_nc_u32_e32 v8, v8, v10
	v_mul_hi_u32 v10, v4, v9
	v_mul_lo_u32 v11, v4, v8
	v_mul_hi_u32 v12, v4, v8
	v_mul_hi_u32 v13, v7, v9
	v_mul_lo_u32 v9, v7, v9
	v_mul_hi_u32 v14, v7, v8
	v_mul_lo_u32 v8, v7, v8
	v_add_co_u32 v10, vcc_lo, v10, v11
	v_add_co_ci_u32_e32 v11, vcc_lo, 0, v12, vcc_lo
	v_add_co_u32 v9, vcc_lo, v10, v9
	v_add_co_ci_u32_e32 v9, vcc_lo, v11, v13, vcc_lo
	v_add_co_ci_u32_e32 v10, vcc_lo, 0, v14, vcc_lo
	v_add_co_u32 v8, vcc_lo, v9, v8
	v_add_co_ci_u32_e32 v9, vcc_lo, 0, v10, vcc_lo
	v_add_co_u32 v4, vcc_lo, v4, v8
	v_add_co_ci_u32_e32 v11, vcc_lo, v7, v9, vcc_lo
	v_mul_hi_u32 v13, v5, v4
	v_mad_u64_u32 v[9:10], null, v6, v4, 0
	v_mad_u64_u32 v[7:8], null, v5, v11, 0
	;; [unrolled: 1-line block ×3, first 2 shown]
	v_add_co_u32 v4, vcc_lo, v13, v7
	v_add_co_ci_u32_e32 v7, vcc_lo, 0, v8, vcc_lo
	v_add_co_u32 v4, vcc_lo, v4, v9
	v_add_co_ci_u32_e32 v4, vcc_lo, v7, v10, vcc_lo
	v_add_co_ci_u32_e32 v7, vcc_lo, 0, v12, vcc_lo
	v_add_co_u32 v4, vcc_lo, v4, v11
	v_add_co_ci_u32_e32 v9, vcc_lo, 0, v7, vcc_lo
	v_mul_lo_u32 v10, s19, v4
	v_mad_u64_u32 v[7:8], null, s18, v4, 0
	v_mul_lo_u32 v11, s18, v9
	v_sub_co_u32 v7, vcc_lo, v5, v7
	v_add3_u32 v8, v8, v11, v10
	v_sub_nc_u32_e32 v10, v6, v8
	v_subrev_co_ci_u32_e64 v10, s0, s19, v10, vcc_lo
	v_add_co_u32 v11, s0, v4, 2
	v_add_co_ci_u32_e64 v12, s0, 0, v9, s0
	v_sub_co_u32 v13, s0, v7, s18
	v_sub_co_ci_u32_e32 v8, vcc_lo, v6, v8, vcc_lo
	v_subrev_co_ci_u32_e64 v10, s0, 0, v10, s0
	v_cmp_le_u32_e32 vcc_lo, s18, v13
	v_cmp_eq_u32_e64 s0, s19, v8
	v_cndmask_b32_e64 v13, 0, -1, vcc_lo
	v_cmp_le_u32_e32 vcc_lo, s19, v10
	v_cndmask_b32_e64 v14, 0, -1, vcc_lo
	v_cmp_le_u32_e32 vcc_lo, s18, v7
	;; [unrolled: 2-line block ×3, first 2 shown]
	v_cndmask_b32_e64 v15, 0, -1, vcc_lo
	v_cmp_eq_u32_e32 vcc_lo, s19, v10
	v_cndmask_b32_e64 v7, v15, v7, s0
	v_cndmask_b32_e32 v10, v14, v13, vcc_lo
	v_add_co_u32 v13, vcc_lo, v4, 1
	v_add_co_ci_u32_e32 v14, vcc_lo, 0, v9, vcc_lo
	v_cmp_ne_u32_e32 vcc_lo, 0, v10
	v_cndmask_b32_e32 v8, v14, v12, vcc_lo
	v_cndmask_b32_e32 v10, v13, v11, vcc_lo
	v_cmp_ne_u32_e32 vcc_lo, 0, v7
	v_cndmask_b32_e32 v8, v9, v8, vcc_lo
	v_cndmask_b32_e32 v7, v4, v10, vcc_lo
.LBB0_4:                                ;   in Loop: Header=BB0_2 Depth=1
	s_andn2_saveexec_b32 s0, s1
	s_cbranch_execz .LBB0_6
; %bb.5:                                ;   in Loop: Header=BB0_2 Depth=1
	v_cvt_f32_u32_e32 v4, s18
	s_sub_i32 s1, 0, s18
	v_rcp_iflag_f32_e32 v4, v4
	v_mul_f32_e32 v4, 0x4f7ffffe, v4
	v_cvt_u32_f32_e32 v4, v4
	v_mul_lo_u32 v7, s1, v4
	v_mul_hi_u32 v7, v4, v7
	v_add_nc_u32_e32 v4, v4, v7
	v_mul_hi_u32 v4, v5, v4
	v_mul_lo_u32 v7, v4, s18
	v_add_nc_u32_e32 v8, 1, v4
	v_sub_nc_u32_e32 v7, v5, v7
	v_subrev_nc_u32_e32 v9, s18, v7
	v_cmp_le_u32_e32 vcc_lo, s18, v7
	v_cndmask_b32_e32 v7, v7, v9, vcc_lo
	v_cndmask_b32_e32 v4, v4, v8, vcc_lo
	v_cmp_le_u32_e32 vcc_lo, s18, v7
	v_add_nc_u32_e32 v8, 1, v4
	v_cndmask_b32_e32 v7, v4, v8, vcc_lo
	v_mov_b32_e32 v8, v3
.LBB0_6:                                ;   in Loop: Header=BB0_2 Depth=1
	s_or_b32 exec_lo, exec_lo, s0
	s_load_dwordx2 s[0:1], s[6:7], 0x0
	v_mul_lo_u32 v4, v8, s18
	v_mul_lo_u32 v11, v7, s19
	v_mad_u64_u32 v[9:10], null, v7, s18, 0
	s_add_u32 s16, s16, 1
	s_addc_u32 s17, s17, 0
	s_add_u32 s6, s6, 8
	s_addc_u32 s7, s7, 0
	;; [unrolled: 2-line block ×3, first 2 shown]
	v_add3_u32 v4, v10, v11, v4
	v_sub_co_u32 v5, vcc_lo, v5, v9
	v_sub_co_ci_u32_e32 v4, vcc_lo, v6, v4, vcc_lo
	s_waitcnt lgkmcnt(0)
	v_mul_lo_u32 v6, s1, v5
	v_mul_lo_u32 v4, s0, v4
	v_mad_u64_u32 v[1:2], null, s0, v5, v[1:2]
	v_cmp_ge_u64_e64 s0, s[16:17], s[10:11]
	s_and_b32 vcc_lo, exec_lo, s0
	v_add3_u32 v2, v6, v2, v4
	s_cbranch_vccnz .LBB0_9
; %bb.7:                                ;   in Loop: Header=BB0_2 Depth=1
	v_mov_b32_e32 v5, v7
	v_mov_b32_e32 v6, v8
	s_branch .LBB0_2
.LBB0_8:
	v_mov_b32_e32 v8, v6
	v_mov_b32_e32 v7, v5
.LBB0_9:
	s_lshl_b64 s[0:1], s[10:11], 3
	v_mul_hi_u32 v3, 0x2082083, v0
	s_add_u32 s0, s12, s0
	s_addc_u32 s1, s13, s1
	s_load_dwordx2 s[4:5], s[4:5], 0x20
	s_load_dwordx2 s[0:1], s[0:1], 0x0
	v_mul_u32_u24_e32 v3, 0x7e, v3
	v_sub_nc_u32_e32 v56, v0, v3
	v_add_nc_u32_e32 v61, 0x7e, v56
	v_add_nc_u32_e32 v9, 0xfc, v56
	s_waitcnt lgkmcnt(0)
	v_cmp_gt_u64_e32 vcc_lo, s[4:5], v[7:8]
	v_mul_lo_u32 v3, s0, v8
	v_mul_lo_u32 v4, s1, v7
	v_mad_u64_u32 v[0:1], null, s0, v7, v[1:2]
	v_cmp_le_u64_e64 s0, s[4:5], v[7:8]
	v_add_nc_u32_e32 v8, 0x17a, v56
	v_add3_u32 v1, v4, v1, v3
	s_and_saveexec_b32 s1, s0
	s_xor_b32 s0, exec_lo, s1
; %bb.10:
	v_add_nc_u32_e32 v61, 0x7e, v56
	v_add_nc_u32_e32 v9, 0xfc, v56
	;; [unrolled: 1-line block ×3, first 2 shown]
; %bb.11:
	s_or_saveexec_b32 s1, s0
	v_lshlrev_b64 v[58:59], 4, v[0:1]
	s_xor_b32 exec_lo, exec_lo, s1
	s_cbranch_execz .LBB0_13
; %bb.12:
	v_mov_b32_e32 v57, 0
	v_add_co_u32 v2, s0, s2, v58
	v_add_co_ci_u32_e64 v3, s0, s3, v59, s0
	v_lshlrev_b64 v[0:1], 4, v[56:57]
	v_lshl_add_u32 v38, v56, 4, 0
	v_add_co_u32 v18, s0, v2, v0
	v_add_co_ci_u32_e64 v19, s0, v3, v1, s0
	v_add_co_u32 v10, s0, 0x800, v18
	v_add_co_ci_u32_e64 v11, s0, 0, v19, s0
	v_add_co_u32 v14, s0, 0x1000, v18
	v_add_co_ci_u32_e64 v15, s0, 0, v19, s0
	v_add_co_u32 v20, s0, 0x1800, v18
	v_add_co_ci_u32_e64 v21, s0, 0, v19, s0
	v_add_co_u32 v22, s0, 0x2000, v18
	v_add_co_ci_u32_e64 v23, s0, 0, v19, s0
	v_add_co_u32 v26, s0, 0x2800, v18
	v_add_co_ci_u32_e64 v27, s0, 0, v19, s0
	v_add_co_u32 v30, s0, 0x3000, v18
	v_add_co_ci_u32_e64 v31, s0, 0, v19, s0
	v_add_co_u32 v34, s0, 0x3800, v18
	v_add_co_ci_u32_e64 v35, s0, 0, v19, s0
	s_clause 0x8
	global_load_dwordx4 v[0:3], v[18:19], off
	global_load_dwordx4 v[4:7], v[18:19], off offset:2016
	global_load_dwordx4 v[10:13], v[10:11], off offset:1984
	;; [unrolled: 1-line block ×8, first 2 shown]
	s_waitcnt vmcnt(8)
	ds_write_b128 v38, v[0:3]
	s_waitcnt vmcnt(7)
	ds_write_b128 v38, v[4:7] offset:2016
	s_waitcnt vmcnt(6)
	ds_write_b128 v38, v[10:13] offset:4032
	;; [unrolled: 2-line block ×8, first 2 shown]
.LBB0_13:
	s_or_b32 exec_lo, exec_lo, s1
	v_lshlrev_b32_e32 v50, 4, v56
	s_waitcnt lgkmcnt(0)
	s_barrier
	buffer_gl0_inv
	s_mov_b32 s1, exec_lo
	v_add_nc_u32_e32 v60, 0, v50
	ds_read_b128 v[0:3], v60 offset:9072
	ds_read_b128 v[10:13], v60
	ds_read_b128 v[14:17], v60 offset:2016
	ds_read_b128 v[18:21], v60 offset:11088
	ds_read_b128 v[22:25], v60 offset:13104
	ds_read_b128 v[26:29], v60 offset:4032
	ds_read_b128 v[30:33], v60 offset:6048
	ds_read_b128 v[34:37], v60 offset:15120
	ds_read_b128 v[4:7], v60 offset:8064
	ds_read_b128 v[38:41], v60 offset:17136
	s_waitcnt lgkmcnt(0)
	s_barrier
	buffer_gl0_inv
	v_add_f64 v[42:43], v[10:11], -v[0:1]
	v_add_f64 v[44:45], v[12:13], -v[2:3]
	;; [unrolled: 1-line block ×10, first 2 shown]
	v_fma_f64 v[46:47], v[10:11], 2.0, -v[42:43]
	v_fma_f64 v[48:49], v[12:13], 2.0, -v[44:45]
	;; [unrolled: 1-line block ×8, first 2 shown]
	v_lshl_add_u32 v12, v61, 5, 0
	v_lshl_add_u32 v10, v9, 5, 0
	;; [unrolled: 1-line block ×3, first 2 shown]
	v_add_nc_u32_e32 v11, v60, v50
	ds_write_b128 v11, v[42:45] offset:16
	ds_write_b128 v12, v[18:21] offset:16
	;; [unrolled: 1-line block ×3, first 2 shown]
	ds_write_b128 v11, v[46:49]
	ds_write_b128 v12, v[14:17]
	;; [unrolled: 1-line block ×4, first 2 shown]
	ds_write_b128 v13, v[34:37] offset:16
	v_cmpx_gt_u32_e32 63, v56
	s_cbranch_execz .LBB0_15
; %bb.14:
	v_fma_f64 v[6:7], v[6:7], 2.0, -v[2:3]
	v_fma_f64 v[4:5], v[4:5], 2.0, -v[0:1]
	ds_write_b128 v11, v[4:7] offset:16128
	ds_write_b128 v11, v[0:3] offset:16144
.LBB0_15:
	s_or_b32 exec_lo, exec_lo, s1
	v_and_b32_e32 v11, 1, v56
	s_waitcnt lgkmcnt(0)
	s_barrier
	buffer_gl0_inv
	v_lshlrev_b32_e32 v57, 4, v9
	v_lshlrev_b32_e32 v4, 5, v11
	s_mov_b32 s0, 0xe8584caa
	s_mov_b32 s1, 0xbfebb67a
	;; [unrolled: 1-line block ×4, first 2 shown]
	s_clause 0x1
	global_load_dwordx4 v[14:17], v4, s[8:9]
	global_load_dwordx4 v[18:21], v4, s[8:9] offset:16
	v_lshlrev_b32_e32 v4, 4, v8
	v_and_b32_e32 v8, 0xff, v56
	v_sub_nc_u32_e32 v4, v13, v4
	v_lshlrev_b32_e32 v13, 4, v61
	ds_read_b128 v[22:25], v4
	ds_read_b128 v[26:29], v60 offset:12096
	ds_read_b128 v[30:33], v60 offset:8064
	;; [unrolled: 1-line block ×5, first 2 shown]
	v_sub_nc_u32_e32 v5, v12, v13
	ds_read_b128 v[46:49], v60
	ds_read_b128 v[50:53], v5
	s_waitcnt vmcnt(1) lgkmcnt(7)
	v_mul_f64 v[6:7], v[24:25], v[16:17]
	v_mul_f64 v[54:55], v[22:23], v[16:17]
	s_waitcnt vmcnt(0) lgkmcnt(6)
	v_mul_f64 v[62:63], v[28:29], v[20:21]
	v_mul_f64 v[64:65], v[26:27], v[20:21]
	s_waitcnt lgkmcnt(5)
	v_mul_f64 v[66:67], v[32:33], v[16:17]
	v_mul_f64 v[68:69], v[30:31], v[16:17]
	s_waitcnt lgkmcnt(4)
	;; [unrolled: 3-line block ×4, first 2 shown]
	v_mul_f64 v[76:77], v[44:45], v[20:21]
	v_mul_f64 v[20:21], v[42:43], v[20:21]
	v_fma_f64 v[22:23], v[22:23], v[14:15], v[6:7]
	v_fma_f64 v[24:25], v[24:25], v[14:15], -v[54:55]
	v_fma_f64 v[26:27], v[26:27], v[18:19], v[62:63]
	v_fma_f64 v[28:29], v[28:29], v[18:19], -v[64:65]
	;; [unrolled: 2-line block ×6, first 2 shown]
	v_sub_nc_u32_e32 v6, v10, v57
	v_lshrrev_b32_e32 v15, 1, v61
	v_mov_b32_e32 v70, 0xaaab
	v_mul_lo_u16 v71, 0xab, v8
	v_and_b32_e32 v10, 0xff, v61
	ds_read_b128 v[16:19], v6
	v_mul_lo_u32 v86, v15, 6
	v_mul_u32_u24_sdwa v88, v9, v70 dst_sel:DWORD dst_unused:UNUSED_PAD src0_sel:WORD_0 src1_sel:DWORD
	v_lshrrev_b16 v15, 10, v71
	v_lshrrev_b32_e32 v57, 1, v9
	s_waitcnt lgkmcnt(2)
	v_add_f64 v[70:71], v[46:47], v[22:23]
	v_add_f64 v[72:73], v[48:49], v[24:25]
	;; [unrolled: 1-line block ×4, first 2 shown]
	v_add_f64 v[74:75], v[24:25], -v[28:29]
	v_add_f64 v[82:83], v[22:23], -v[26:27]
	v_add_f64 v[62:63], v[30:31], v[34:35]
	v_add_f64 v[64:65], v[32:33], v[36:37]
	s_waitcnt lgkmcnt(1)
	v_add_f64 v[24:25], v[50:51], v[30:31]
	v_add_f64 v[76:77], v[52:53], v[32:33]
	v_add_f64 v[66:67], v[38:39], v[42:43]
	v_add_f64 v[68:69], v[40:41], v[44:45]
	v_add_f64 v[84:85], v[38:39], -v[42:43]
	v_lshrrev_b32_e32 v14, 1, v56
	v_mul_lo_u16 v87, 0xab, v10
	s_waitcnt lgkmcnt(0)
	v_add_f64 v[78:79], v[16:17], v[38:39]
	v_add_f64 v[80:81], v[18:19], v[40:41]
	v_mul_lo_u32 v57, v57, 6
	v_mul_u32_u24_e32 v14, 6, v14
	v_mov_b32_e32 v7, 5
	s_barrier
	buffer_gl0_inv
	v_or_b32_e32 v14, v14, v11
	v_fma_f64 v[46:47], v[20:21], -0.5, v[46:47]
	v_fma_f64 v[48:49], v[54:55], -0.5, v[48:49]
	v_add_f64 v[54:55], v[32:33], -v[36:37]
	v_add_f64 v[20:21], v[72:73], v[28:29]
	v_fma_f64 v[50:51], v[62:63], -0.5, v[50:51]
	v_add_f64 v[62:63], v[30:31], -v[34:35]
	v_fma_f64 v[52:53], v[64:65], -0.5, v[52:53]
	v_add_f64 v[64:65], v[40:41], -v[44:45]
	v_fma_f64 v[66:67], v[66:67], -0.5, v[16:17]
	v_fma_f64 v[68:69], v[68:69], -0.5, v[18:19]
	v_add_f64 v[18:19], v[70:71], v[26:27]
	v_add_f64 v[22:23], v[24:25], v[34:35]
	;; [unrolled: 1-line block ×5, first 2 shown]
	v_lshrrev_b16 v16, 10, v87
	v_lshrrev_b32_e32 v17, 18, v88
	v_lshl_add_u32 v14, v14, 4, 0
	v_fma_f64 v[30:31], v[74:75], s[0:1], v[46:47]
	v_fma_f64 v[32:33], v[82:83], s[4:5], v[48:49]
	;; [unrolled: 1-line block ×10, first 2 shown]
	v_mul_lo_u16 v55, v15, 6
	v_fma_f64 v[50:51], v[64:65], s[4:5], v[66:67]
	v_fma_f64 v[52:53], v[84:85], s[0:1], v[68:69]
	v_mul_lo_u16 v62, v16, 6
	v_or_b32_e32 v54, v86, v11
	v_sub_nc_u16 v92, v56, v55
	v_or_b32_e32 v11, v57, v11
	v_mul_lo_u16 v57, v17, 6
	v_sub_nc_u16 v93, v61, v62
	v_lshl_add_u32 v54, v54, 4, 0
	v_lshlrev_b32_sdwa v55, v7, v92 dst_sel:DWORD dst_unused:UNUSED_PAD src0_sel:DWORD src1_sel:BYTE_0
	v_lshl_add_u32 v11, v11, 4, 0
	v_sub_nc_u16 v57, v9, v57
	v_lshlrev_b32_sdwa v62, v7, v93 dst_sel:DWORD dst_unused:UNUSED_PAD src0_sel:DWORD src1_sel:BYTE_0
	ds_write_b128 v14, v[18:21]
	ds_write_b128 v14, v[30:33] offset:32
	ds_write_b128 v14, v[34:37] offset:64
	ds_write_b128 v54, v[22:25]
	ds_write_b128 v54, v[38:41] offset:32
	ds_write_b128 v54, v[42:45] offset:64
	;; [unrolled: 3-line block ×3, first 2 shown]
	s_waitcnt lgkmcnt(0)
	s_barrier
	buffer_gl0_inv
	s_clause 0x1
	global_load_dwordx4 v[18:21], v55, s[8:9] offset:64
	global_load_dwordx4 v[22:25], v55, s[8:9] offset:80
	v_lshlrev_b32_sdwa v11, v7, v57 dst_sel:DWORD dst_unused:UNUSED_PAD src0_sel:DWORD src1_sel:WORD_0
	s_clause 0x3
	global_load_dwordx4 v[26:29], v62, s[8:9] offset:64
	global_load_dwordx4 v[30:33], v62, s[8:9] offset:80
	;; [unrolled: 1-line block ×4, first 2 shown]
	ds_read_b128 v[42:45], v4
	ds_read_b128 v[46:49], v60 offset:12096
	ds_read_b128 v[50:53], v60 offset:8064
	;; [unrolled: 1-line block ×5, first 2 shown]
	ds_read_b128 v[74:77], v5
	ds_read_b128 v[78:81], v60
	v_mov_b32_e32 v11, 0xe38f
	v_mul_lo_u16 v14, v8, 57
	v_mul_u32_u24_e32 v17, 0x120, v17
	v_mul_lo_u16 v8, v8, 19
	v_lshrrev_b16 v94, 10, v14
	v_mov_b32_e32 v14, 4
	v_lshlrev_b32_sdwa v57, v14, v57 dst_sel:DWORD dst_unused:UNUSED_PAD src0_sel:DWORD src1_sel:WORD_0
	v_add3_u32 v17, 0, v17, v57
	v_lshrrev_b16 v57, 10, v8
	v_mov_b32_e32 v8, 0x360
	s_waitcnt vmcnt(5) lgkmcnt(7)
	v_mul_f64 v[54:55], v[44:45], v[20:21]
	s_waitcnt vmcnt(4) lgkmcnt(6)
	v_mul_f64 v[82:83], v[48:49], v[24:25]
	v_mul_f64 v[20:21], v[42:43], v[20:21]
	v_mul_f64 v[24:25], v[46:47], v[24:25]
	s_waitcnt vmcnt(3) lgkmcnt(5)
	v_mul_f64 v[84:85], v[52:53], v[28:29]
	s_waitcnt vmcnt(2) lgkmcnt(4)
	v_mul_f64 v[86:87], v[64:65], v[32:33]
	v_mul_f64 v[28:29], v[50:51], v[28:29]
	v_mul_f64 v[32:33], v[62:63], v[32:33]
	;; [unrolled: 6-line block ×3, first 2 shown]
	v_fma_f64 v[42:43], v[42:43], v[18:19], v[54:55]
	v_fma_f64 v[46:47], v[46:47], v[22:23], v[82:83]
	v_fma_f64 v[44:45], v[44:45], v[18:19], -v[20:21]
	v_fma_f64 v[23:24], v[48:49], v[22:23], -v[24:25]
	v_fma_f64 v[48:49], v[50:51], v[26:27], v[84:85]
	v_fma_f64 v[50:51], v[62:63], v[30:31], v[86:87]
	v_fma_f64 v[25:26], v[52:53], v[26:27], -v[28:29]
	v_fma_f64 v[27:28], v[64:65], v[30:31], -v[32:33]
	;; [unrolled: 4-line block ×3, first 2 shown]
	ds_read_b128 v[19:22], v6
	v_mul_lo_u16 v18, v10, 57
	v_mul_u32_u24_sdwa v41, v9, v11 dst_sel:DWORD dst_unused:UNUSED_PAD src0_sel:WORD_0 src1_sel:DWORD
	v_mov_b32_e32 v86, 0x120
	v_mul_lo_u16 v87, v94, 18
	s_waitcnt lgkmcnt(0)
	v_lshrrev_b16 v11, 10, v18
	v_lshrrev_b32_e32 v18, 20, v41
	v_mul_u32_u24_sdwa v15, v15, v86 dst_sel:DWORD dst_unused:UNUSED_PAD src0_sel:WORD_0 src1_sel:DWORD
	v_sub_nc_u16 v95, v56, v87
	v_add_f64 v[66:67], v[78:79], v[42:43]
	v_add_f64 v[37:38], v[42:43], v[46:47]
	;; [unrolled: 1-line block ×4, first 2 shown]
	v_add_f64 v[44:45], v[44:45], -v[23:24]
	v_add_f64 v[52:53], v[48:49], v[50:51]
	v_add_f64 v[72:73], v[76:77], v[25:26]
	;; [unrolled: 1-line block ×3, first 2 shown]
	v_add_f64 v[41:42], v[42:43], -v[46:47]
	v_add_f64 v[62:63], v[29:30], v[31:32]
	v_add_f64 v[82:83], v[19:20], v[29:30]
	;; [unrolled: 1-line block ×5, first 2 shown]
	v_add_f64 v[48:49], v[48:49], -v[50:51]
	v_mul_u32_u24_sdwa v16, v16, v86 dst_sel:DWORD dst_unused:UNUSED_PAD src0_sel:WORD_0 src1_sel:DWORD
	s_barrier
	buffer_gl0_inv
	v_mul_lo_u16 v10, v10, 19
	v_fma_f64 v[37:38], v[37:38], -0.5, v[78:79]
	v_add_f64 v[78:79], v[25:26], -v[27:28]
	v_fma_f64 v[39:40], v[39:40], -0.5, v[80:81]
	v_mul_lo_u16 v80, v11, 18
	v_fma_f64 v[52:53], v[52:53], -0.5, v[74:75]
	v_add_f64 v[74:75], v[33:34], -v[35:36]
	v_fma_f64 v[54:55], v[54:55], -0.5, v[76:77]
	v_add_f64 v[76:77], v[29:30], -v[31:32]
	v_fma_f64 v[62:63], v[62:63], -0.5, v[19:20]
	v_add_f64 v[19:20], v[66:67], v[46:47]
	v_fma_f64 v[64:65], v[64:65], -0.5, v[21:22]
	v_add_f64 v[21:22], v[68:69], v[23:24]
	v_add_f64 v[25:26], v[72:73], v[27:28]
	;; [unrolled: 1-line block ×5, first 2 shown]
	v_mul_lo_u16 v81, v18, 18
	v_sub_nc_u16 v96, v9, v81
	v_fma_f64 v[31:32], v[44:45], s[0:1], v[37:38]
	v_fma_f64 v[35:36], v[44:45], s[4:5], v[37:38]
	;; [unrolled: 1-line block ×12, first 2 shown]
	v_lshlrev_b32_sdwa v62, v14, v92 dst_sel:DWORD dst_unused:UNUSED_PAD src0_sel:DWORD src1_sel:BYTE_0
	v_lshlrev_b32_sdwa v63, v14, v93 dst_sel:DWORD dst_unused:UNUSED_PAD src0_sel:DWORD src1_sel:BYTE_0
	v_sub_nc_u16 v55, v61, v80
	v_lshlrev_b32_sdwa v64, v7, v95 dst_sel:DWORD dst_unused:UNUSED_PAD src0_sel:DWORD src1_sel:BYTE_0
	v_add3_u32 v15, 0, v15, v62
	v_add3_u32 v16, 0, v16, v63
	v_lshlrev_b32_sdwa v65, v7, v55 dst_sel:DWORD dst_unused:UNUSED_PAD src0_sel:DWORD src1_sel:BYTE_0
	ds_write_b128 v15, v[19:22]
	ds_write_b128 v15, v[31:34] offset:96
	ds_write_b128 v15, v[35:38] offset:192
	ds_write_b128 v16, v[23:26]
	ds_write_b128 v16, v[39:42] offset:96
	ds_write_b128 v16, v[43:46] offset:192
	;; [unrolled: 3-line block ×3, first 2 shown]
	s_waitcnt lgkmcnt(0)
	s_barrier
	buffer_gl0_inv
	s_clause 0x1
	global_load_dwordx4 v[19:22], v64, s[8:9] offset:256
	global_load_dwordx4 v[23:26], v64, s[8:9] offset:272
	v_lshlrev_b32_sdwa v15, v7, v96 dst_sel:DWORD dst_unused:UNUSED_PAD src0_sel:DWORD src1_sel:WORD_0
	s_clause 0x3
	global_load_dwordx4 v[27:30], v65, s[8:9] offset:256
	global_load_dwordx4 v[31:34], v65, s[8:9] offset:272
	;; [unrolled: 1-line block ×4, first 2 shown]
	ds_read_b128 v[43:46], v4
	ds_read_b128 v[47:50], v60 offset:12096
	ds_read_b128 v[51:54], v60 offset:8064
	;; [unrolled: 1-line block ×5, first 2 shown]
	ds_read_b128 v[74:77], v5
	ds_read_b128 v[78:81], v60
	v_lshrrev_b16 v17, 1, v9
	s_waitcnt vmcnt(5) lgkmcnt(7)
	v_mul_f64 v[15:16], v[45:46], v[21:22]
	s_waitcnt vmcnt(4) lgkmcnt(6)
	v_mul_f64 v[82:83], v[49:50], v[25:26]
	v_mul_f64 v[21:22], v[43:44], v[21:22]
	v_mul_f64 v[25:26], v[47:48], v[25:26]
	s_waitcnt vmcnt(3) lgkmcnt(5)
	v_mul_f64 v[84:85], v[53:54], v[29:30]
	s_waitcnt vmcnt(2) lgkmcnt(4)
	v_mul_f64 v[86:87], v[64:65], v[33:34]
	v_mul_f64 v[29:30], v[51:52], v[29:30]
	v_mul_f64 v[33:34], v[62:63], v[33:34]
	;; [unrolled: 6-line block ×3, first 2 shown]
	v_fma_f64 v[15:16], v[43:44], v[19:20], v[15:16]
	v_fma_f64 v[43:44], v[47:48], v[23:24], v[82:83]
	v_fma_f64 v[45:46], v[45:46], v[19:20], -v[21:22]
	v_fma_f64 v[23:24], v[49:50], v[23:24], -v[25:26]
	v_fma_f64 v[25:26], v[51:52], v[27:28], v[84:85]
	v_fma_f64 v[47:48], v[62:63], v[31:32], v[86:87]
	v_fma_f64 v[27:28], v[53:54], v[27:28], -v[29:30]
	v_fma_f64 v[29:30], v[64:65], v[31:32], -v[33:34]
	;; [unrolled: 4-line block ×3, first 2 shown]
	v_mov_b32_e32 v51, 0x97b5
	ds_read_b128 v[19:22], v6
	v_mul_u32_u24_sdwa v88, v94, v8 dst_sel:DWORD dst_unused:UNUSED_PAD src0_sel:WORD_0 src1_sel:DWORD
	v_mul_u32_u24_sdwa v8, v11, v8 dst_sel:DWORD dst_unused:UNUSED_PAD src0_sel:WORD_0 src1_sel:DWORD
	v_mul_u32_u24_e32 v11, 0x360, v18
	v_mul_u32_u24_sdwa v17, v17, v51 dst_sel:DWORD dst_unused:UNUSED_PAD src0_sel:WORD_0 src1_sel:DWORD
	v_lshrrev_b16 v86, 10, v10
	v_mul_lo_u16 v10, v57, 54
	s_waitcnt lgkmcnt(0)
	s_barrier
	v_add_f64 v[64:65], v[78:79], v[15:16]
	v_add_f64 v[39:40], v[15:16], v[43:44]
	;; [unrolled: 1-line block ×4, first 2 shown]
	v_add_f64 v[45:46], v[45:46], -v[23:24]
	v_add_f64 v[49:50], v[25:26], v[47:48]
	v_add_f64 v[70:71], v[76:77], v[27:28]
	;; [unrolled: 1-line block ×5, first 2 shown]
	v_add_f64 v[84:85], v[31:32], -v[33:34]
	v_add_f64 v[62:63], v[35:36], v[37:38]
	v_add_f64 v[72:73], v[19:20], v[31:32]
	;; [unrolled: 1-line block ×3, first 2 shown]
	v_lshrrev_b32_e32 v87, 20, v17
	v_mul_lo_u16 v89, v86, 54
	v_sub_nc_u16 v91, v56, v10
	v_lshlrev_b32_sdwa v10, v14, v55 dst_sel:DWORD dst_unused:UNUSED_PAD src0_sel:DWORD src1_sel:BYTE_0
	buffer_gl0_inv
	v_mul_lo_u16 v90, v87, 54
	v_mov_b32_e32 v55, 0xa20
	v_add3_u32 v8, 0, v8, v10
	v_fma_f64 v[39:40], v[39:40], -0.5, v[78:79]
	v_add_f64 v[78:79], v[15:16], -v[43:44]
	v_fma_f64 v[41:42], v[41:42], -0.5, v[80:81]
	v_add_f64 v[80:81], v[27:28], -v[29:30]
	;; [unrolled: 2-line block ×4, first 2 shown]
	v_fma_f64 v[53:54], v[53:54], -0.5, v[19:20]
	v_add_f64 v[17:18], v[66:67], v[23:24]
	v_fma_f64 v[62:63], v[62:63], -0.5, v[21:22]
	v_add_f64 v[15:16], v[64:65], v[43:44]
	v_add_f64 v[21:22], v[70:71], v[29:30]
	;; [unrolled: 1-line block ×5, first 2 shown]
	v_mul_u32_u24_sdwa v57, v57, v55 dst_sel:DWORD dst_unused:UNUSED_PAD src0_sel:WORD_0 src1_sel:DWORD
	v_fma_f64 v[27:28], v[45:46], s[0:1], v[39:40]
	v_fma_f64 v[31:32], v[45:46], s[4:5], v[39:40]
	;; [unrolled: 1-line block ×12, first 2 shown]
	v_sub_nc_u16 v85, v9, v90
	v_lshlrev_b32_sdwa v9, v14, v95 dst_sel:DWORD dst_unused:UNUSED_PAD src0_sel:DWORD src1_sel:BYTE_0
	v_lshlrev_b32_sdwa v51, v14, v96 dst_sel:DWORD dst_unused:UNUSED_PAD src0_sel:DWORD src1_sel:WORD_0
	v_sub_nc_u16 v84, v61, v89
	v_lshlrev_b32_sdwa v52, v7, v91 dst_sel:DWORD dst_unused:UNUSED_PAD src0_sel:DWORD src1_sel:BYTE_0
	v_add3_u32 v9, 0, v88, v9
	v_add3_u32 v10, 0, v11, v51
	v_lshlrev_b32_sdwa v53, v7, v84 dst_sel:DWORD dst_unused:UNUSED_PAD src0_sel:DWORD src1_sel:BYTE_0
	ds_write_b128 v9, v[15:18]
	ds_write_b128 v9, v[27:30] offset:288
	ds_write_b128 v9, v[31:34] offset:576
	ds_write_b128 v8, v[19:22]
	ds_write_b128 v8, v[35:38] offset:288
	ds_write_b128 v8, v[39:42] offset:576
	;; [unrolled: 3-line block ×3, first 2 shown]
	s_waitcnt lgkmcnt(0)
	s_barrier
	buffer_gl0_inv
	s_clause 0x1
	global_load_dwordx4 v[8:11], v52, s[8:9] offset:832
	global_load_dwordx4 v[15:18], v52, s[8:9] offset:848
	v_lshlrev_b32_sdwa v7, v7, v85 dst_sel:DWORD dst_unused:UNUSED_PAD src0_sel:DWORD src1_sel:WORD_0
	s_clause 0x3
	global_load_dwordx4 v[19:22], v53, s[8:9] offset:832
	global_load_dwordx4 v[23:26], v53, s[8:9] offset:848
	;; [unrolled: 1-line block ×4, first 2 shown]
	ds_read_b128 v[35:38], v4
	ds_read_b128 v[39:42], v60 offset:12096
	ds_read_b128 v[43:46], v60 offset:8064
	;; [unrolled: 1-line block ×5, first 2 shown]
	ds_read_b128 v[66:69], v5
	ds_read_b128 v[70:73], v60
	s_waitcnt vmcnt(5) lgkmcnt(7)
	v_mul_f64 v[4:5], v[37:38], v[10:11]
	s_waitcnt vmcnt(4) lgkmcnt(6)
	v_mul_f64 v[74:75], v[41:42], v[17:18]
	v_mul_f64 v[10:11], v[35:36], v[10:11]
	v_mul_f64 v[17:18], v[39:40], v[17:18]
	s_waitcnt vmcnt(3) lgkmcnt(5)
	v_mul_f64 v[76:77], v[45:46], v[21:22]
	s_waitcnt vmcnt(2) lgkmcnt(4)
	v_mul_f64 v[78:79], v[49:50], v[25:26]
	v_mul_f64 v[21:22], v[43:44], v[21:22]
	v_mul_f64 v[25:26], v[47:48], v[25:26]
	;; [unrolled: 6-line block ×3, first 2 shown]
	v_fma_f64 v[35:36], v[35:36], v[8:9], v[4:5]
	v_fma_f64 v[39:40], v[39:40], v[15:16], v[74:75]
	v_fma_f64 v[8:9], v[37:38], v[8:9], -v[10:11]
	v_fma_f64 v[10:11], v[41:42], v[15:16], -v[17:18]
	v_fma_f64 v[15:16], v[43:44], v[19:20], v[76:77]
	v_fma_f64 v[37:38], v[47:48], v[23:24], v[78:79]
	v_fma_f64 v[17:18], v[45:46], v[19:20], -v[21:22]
	v_fma_f64 v[21:22], v[49:50], v[23:24], -v[25:26]
	;; [unrolled: 4-line block ×3, first 2 shown]
	ds_read_b128 v[4:7], v6
	s_waitcnt lgkmcnt(0)
	s_barrier
	buffer_gl0_inv
	v_add_f64 v[47:48], v[70:71], v[35:36]
	v_add_f64 v[29:30], v[35:36], v[39:40]
	;; [unrolled: 1-line block ×4, first 2 shown]
	v_add_f64 v[8:9], v[8:9], -v[10:11]
	v_add_f64 v[33:34], v[15:16], v[37:38]
	v_add_f64 v[35:36], v[35:36], -v[39:40]
	v_add_f64 v[41:42], v[17:18], v[21:22]
	v_add_f64 v[51:52], v[66:67], v[15:16]
	v_add_f64 v[43:44], v[19:20], v[23:24]
	v_add_f64 v[64:65], v[6:7], v[25:26]
	v_add_f64 v[45:46], v[25:26], v[27:28]
	v_add_f64 v[53:54], v[68:69], v[17:18]
	v_add_f64 v[74:75], v[15:16], -v[37:38]
	v_add_f64 v[62:63], v[4:5], v[19:20]
	v_add_f64 v[76:77], v[19:20], -v[23:24]
	v_add_f64 v[15:16], v[47:48], v[39:40]
	v_fma_f64 v[29:30], v[29:30], -0.5, v[70:71]
	v_fma_f64 v[70:71], v[31:32], -0.5, v[72:73]
	v_add_f64 v[72:73], v[17:18], -v[21:22]
	v_fma_f64 v[66:67], v[33:34], -0.5, v[66:67]
	v_add_f64 v[17:18], v[49:50], v[10:11]
	v_fma_f64 v[41:42], v[41:42], -0.5, v[68:69]
	v_add_f64 v[68:69], v[25:26], -v[27:28]
	v_fma_f64 v[43:44], v[43:44], -0.5, v[4:5]
	v_add_f64 v[25:26], v[64:65], v[27:28]
	v_fma_f64 v[45:46], v[45:46], -0.5, v[6:7]
	v_add_f64 v[19:20], v[51:52], v[37:38]
	v_add_f64 v[21:22], v[53:54], v[21:22]
	;; [unrolled: 1-line block ×3, first 2 shown]
	v_fma_f64 v[27:28], v[8:9], s[0:1], v[29:30]
	v_fma_f64 v[31:32], v[8:9], s[4:5], v[29:30]
	;; [unrolled: 1-line block ×12, first 2 shown]
	v_lshlrev_b32_sdwa v45, v14, v91 dst_sel:DWORD dst_unused:UNUSED_PAD src0_sel:DWORD src1_sel:BYTE_0
	v_mul_u32_u24_sdwa v43, v86, v55 dst_sel:DWORD dst_unused:UNUSED_PAD src0_sel:WORD_0 src1_sel:DWORD
	v_lshlrev_b32_sdwa v46, v14, v84 dst_sel:DWORD dst_unused:UNUSED_PAD src0_sel:DWORD src1_sel:BYTE_0
	v_mul_u32_u24_e32 v44, 0xa20, v87
	v_lshlrev_b32_sdwa v14, v14, v85 dst_sel:DWORD dst_unused:UNUSED_PAD src0_sel:DWORD src1_sel:WORD_0
	v_add3_u32 v45, 0, v57, v45
	v_cmp_gt_u32_e64 s0, 36, v56
	v_add3_u32 v43, 0, v43, v46
	v_add3_u32 v14, 0, v44, v14
	ds_write_b128 v45, v[15:18]
	ds_write_b128 v45, v[27:30] offset:864
	ds_write_b128 v45, v[31:34] offset:1728
	ds_write_b128 v43, v[19:22]
	ds_write_b128 v43, v[35:38] offset:864
	ds_write_b128 v43, v[39:42] offset:1728
	;; [unrolled: 3-line block ×3, first 2 shown]
	s_waitcnt lgkmcnt(0)
	s_barrier
	buffer_gl0_inv
	ds_read_b128 v[28:31], v60
	ds_read_b128 v[48:51], v60 offset:2592
	ds_read_b128 v[44:47], v60 offset:5184
	;; [unrolled: 1-line block ×6, first 2 shown]
                                        ; implicit-def: $vgpr26_vgpr27
                                        ; implicit-def: $vgpr22_vgpr23
                                        ; implicit-def: $vgpr18_vgpr19
                                        ; implicit-def: $vgpr14_vgpr15
	s_and_saveexec_b32 s1, s0
	s_cbranch_execz .LBB0_17
; %bb.16:
	v_sub_nc_u32_e32 v0, 0, v13
	v_add_nc_u32_e32 v4, v12, v0
	ds_read_b128 v[8:11], v60 offset:4608
	ds_read_b128 v[0:3], v60 offset:7200
	;; [unrolled: 1-line block ×4, first 2 shown]
	ds_read_b128 v[4:7], v4
	ds_read_b128 v[20:23], v60 offset:14976
	ds_read_b128 v[24:27], v60 offset:17568
.LBB0_17:
	s_or_b32 exec_lo, exec_lo, s1
	v_mul_u32_u24_e32 v57, 6, v56
	s_mov_b32 s10, 0x37e14327
	s_mov_b32 s14, 0xe976ee23
	;; [unrolled: 1-line block ×4, first 2 shown]
	v_lshlrev_b32_e32 v57, 4, v57
	s_mov_b32 s6, 0x429ad128
	s_mov_b32 s4, 0x36b3c0b5
	;; [unrolled: 1-line block ×4, first 2 shown]
	v_add_co_u32 v57, s1, s8, v57
	v_add_co_ci_u32_e64 v62, null, s9, 0, s1
	s_mov_b32 s12, 0xaaaaaaaa
	v_add_co_u32 v74, s1, 0x800, v57
	v_add_co_ci_u32_e64 v75, s1, 0, v62, s1
	v_add_co_u32 v82, s1, 0xa00, v57
	v_add_co_ci_u32_e64 v83, s1, 0, v62, s1
	;; [unrolled: 2-line block ×3, first 2 shown]
	s_clause 0x5
	global_load_dwordx4 v[62:65], v[74:75], off offset:512
	global_load_dwordx4 v[66:69], v[82:83], off offset:16
	global_load_dwordx4 v[70:73], v[70:71], off offset:16
	global_load_dwordx4 v[74:77], v[74:75], off offset:576
	global_load_dwordx4 v[78:81], v[82:83], off offset:32
	global_load_dwordx4 v[82:85], v[82:83], off offset:48
	s_mov_b32 s20, 0xb247c609
	s_mov_b32 s13, 0xbff2aaaa
	;; [unrolled: 1-line block ×11, first 2 shown]
	s_waitcnt vmcnt(0) lgkmcnt(0)
	s_barrier
	buffer_gl0_inv
	v_mul_f64 v[86:87], v[50:51], v[64:65]
	v_mul_f64 v[64:65], v[48:49], v[64:65]
	;; [unrolled: 1-line block ×12, first 2 shown]
	v_fma_f64 v[48:49], v[48:49], v[62:63], v[86:87]
	v_fma_f64 v[50:51], v[50:51], v[62:63], -v[64:65]
	v_fma_f64 v[44:45], v[44:45], v[66:67], v[88:89]
	v_fma_f64 v[46:47], v[46:47], v[66:67], -v[68:69]
	;; [unrolled: 2-line block ×6, first 2 shown]
	v_add_f64 v[62:63], v[48:49], v[52:53]
	v_add_f64 v[64:65], v[50:51], v[54:55]
	;; [unrolled: 1-line block ×4, first 2 shown]
	v_add_f64 v[40:41], v[44:45], -v[40:41]
	v_add_f64 v[42:43], v[46:47], -v[42:43]
	v_add_f64 v[44:45], v[36:37], v[32:33]
	v_add_f64 v[46:47], v[38:39], v[34:35]
	v_add_f64 v[32:33], v[32:33], -v[36:37]
	v_add_f64 v[34:35], v[34:35], -v[38:39]
	;; [unrolled: 1-line block ×4, first 2 shown]
	v_add_f64 v[48:49], v[66:67], v[62:63]
	v_add_f64 v[50:51], v[68:69], v[64:65]
	v_add_f64 v[52:53], v[62:63], -v[44:45]
	v_add_f64 v[54:55], v[64:65], -v[46:47]
	v_add_f64 v[70:71], v[32:33], -v[40:41]
	v_add_f64 v[72:73], v[34:35], -v[42:43]
	v_add_f64 v[74:75], v[40:41], -v[36:37]
	v_add_f64 v[76:77], v[42:43], -v[38:39]
	v_add_f64 v[40:41], v[32:33], v[40:41]
	v_add_f64 v[42:43], v[34:35], v[42:43]
	v_add_f64 v[78:79], v[36:37], -v[32:33]
	v_add_f64 v[80:81], v[38:39], -v[34:35]
	v_add_f64 v[48:49], v[44:45], v[48:49]
	v_add_f64 v[50:51], v[46:47], v[50:51]
	v_add_f64 v[44:45], v[44:45], -v[66:67]
	v_add_f64 v[46:47], v[46:47], -v[68:69]
	v_mul_f64 v[52:53], v[52:53], s[10:11]
	v_mul_f64 v[54:55], v[54:55], s[10:11]
	;; [unrolled: 1-line block ×6, first 2 shown]
	v_add_f64 v[36:37], v[40:41], v[36:37]
	v_add_f64 v[38:39], v[42:43], v[38:39]
	;; [unrolled: 1-line block ×4, first 2 shown]
	v_add_f64 v[28:29], v[66:67], -v[62:63]
	v_add_f64 v[30:31], v[68:69], -v[64:65]
	v_mul_f64 v[62:63], v[44:45], s[4:5]
	v_mul_f64 v[64:65], v[46:47], s[4:5]
	v_fma_f64 v[40:41], v[44:45], s[4:5], v[52:53]
	v_fma_f64 v[42:43], v[46:47], s[4:5], v[54:55]
	;; [unrolled: 1-line block ×4, first 2 shown]
	v_fma_f64 v[66:67], v[74:75], s[6:7], -v[70:71]
	v_fma_f64 v[68:69], v[76:77], s[6:7], -v[72:73]
	v_fma_f64 v[70:71], v[78:79], s[22:23], -v[82:83]
	v_fma_f64 v[72:73], v[80:81], s[22:23], -v[84:85]
	v_fma_f64 v[48:49], v[48:49], s[12:13], v[32:33]
	v_fma_f64 v[50:51], v[50:51], s[12:13], v[34:35]
	v_fma_f64 v[52:53], v[28:29], s[18:19], -v[52:53]
	v_fma_f64 v[54:55], v[30:31], s[18:19], -v[54:55]
	;; [unrolled: 1-line block ×4, first 2 shown]
	v_fma_f64 v[64:65], v[36:37], s[24:25], v[44:45]
	v_fma_f64 v[62:63], v[38:39], s[24:25], v[46:47]
	;; [unrolled: 1-line block ×6, first 2 shown]
	v_add_f64 v[74:75], v[40:41], v[48:49]
	v_add_f64 v[76:77], v[42:43], v[50:51]
	;; [unrolled: 1-line block ×7, first 2 shown]
	v_add_f64 v[38:39], v[76:77], -v[64:65]
	v_add_f64 v[40:41], v[72:73], v[52:53]
	v_add_f64 v[42:43], v[54:55], -v[70:71]
	v_add_f64 v[44:45], v[28:29], -v[68:69]
	v_add_f64 v[46:47], v[66:67], v[30:31]
	v_add_f64 v[48:49], v[68:69], v[28:29]
	v_add_f64 v[50:51], v[30:31], -v[66:67]
	v_add_f64 v[52:53], v[52:53], -v[72:73]
	v_add_f64 v[54:55], v[70:71], v[54:55]
	v_add_f64 v[62:63], v[74:75], -v[62:63]
	v_add_f64 v[64:65], v[64:65], v[76:77]
	v_mov_b32_e32 v29, 0
	ds_write_b128 v60, v[32:35]
	ds_write_b128 v60, v[36:39] offset:2592
	ds_write_b128 v60, v[40:43] offset:5184
	ds_write_b128 v60, v[44:47] offset:7776
	ds_write_b128 v60, v[48:51] offset:10368
	ds_write_b128 v60, v[52:55] offset:12960
	ds_write_b128 v60, v[62:65] offset:15552
	s_and_saveexec_b32 s1, s0
	s_cbranch_execz .LBB0_19
; %bb.18:
	v_subrev_nc_u32_e32 v28, 36, v56
	v_cndmask_b32_e64 v28, v28, v61, s0
	v_mul_i32_i24_e32 v28, 6, v28
	v_lshlrev_b64 v[28:29], 4, v[28:29]
	v_add_co_u32 v28, s0, s8, v28
	v_add_co_ci_u32_e64 v29, s0, s9, v29, s0
	v_add_co_u32 v48, s0, 0xa00, v28
	v_add_co_ci_u32_e64 v49, s0, 0, v29, s0
	;; [unrolled: 2-line block ×4, first 2 shown]
	s_clause 0x5
	global_load_dwordx4 v[28:31], v[48:49], off offset:16
	global_load_dwordx4 v[32:35], v[36:37], off offset:576
	;; [unrolled: 1-line block ×6, first 2 shown]
	s_waitcnt vmcnt(5)
	v_mul_f64 v[52:53], v[0:1], v[30:31]
	s_waitcnt vmcnt(4)
	v_mul_f64 v[54:55], v[20:21], v[34:35]
	;; [unrolled: 2-line block ×4, first 2 shown]
	v_mul_f64 v[30:31], v[2:3], v[30:31]
	v_mul_f64 v[34:35], v[22:23], v[34:35]
	;; [unrolled: 1-line block ×4, first 2 shown]
	s_waitcnt vmcnt(1)
	v_mul_f64 v[65:66], v[18:19], v[46:47]
	s_waitcnt vmcnt(0)
	v_mul_f64 v[67:68], v[14:15], v[50:51]
	v_mul_f64 v[50:51], v[12:13], v[50:51]
	v_mul_f64 v[46:47], v[16:17], v[46:47]
	v_fma_f64 v[2:3], v[2:3], v[28:29], -v[52:53]
	v_fma_f64 v[22:23], v[22:23], v[32:33], -v[54:55]
	v_fma_f64 v[10:11], v[10:11], v[36:37], -v[61:62]
	v_fma_f64 v[26:27], v[26:27], v[40:41], -v[63:64]
	v_fma_f64 v[0:1], v[0:1], v[28:29], v[30:31]
	v_fma_f64 v[20:21], v[20:21], v[32:33], v[34:35]
	;; [unrolled: 1-line block ×6, first 2 shown]
	v_fma_f64 v[14:15], v[14:15], v[48:49], -v[50:51]
	v_fma_f64 v[18:19], v[18:19], v[44:45], -v[46:47]
	v_add_f64 v[28:29], v[2:3], v[22:23]
	v_add_f64 v[2:3], v[2:3], -v[22:23]
	v_add_f64 v[30:31], v[10:11], v[26:27]
	v_add_f64 v[10:11], v[10:11], -v[26:27]
	;; [unrolled: 2-line block ×4, first 2 shown]
	v_add_f64 v[36:37], v[16:17], -v[12:13]
	v_add_f64 v[12:13], v[12:13], v[16:17]
	v_add_f64 v[20:21], v[14:15], v[18:19]
	v_add_f64 v[14:15], v[18:19], -v[14:15]
	v_add_f64 v[16:17], v[28:29], v[30:31]
	v_add_f64 v[42:43], v[2:3], -v[10:11]
	;; [unrolled: 2-line block ×3, first 2 shown]
	v_add_f64 v[22:23], v[36:37], -v[0:1]
	v_add_f64 v[26:27], v[34:35], -v[12:13]
	v_add_f64 v[24:25], v[30:31], -v[20:21]
	v_add_f64 v[40:41], v[14:15], -v[2:3]
	v_add_f64 v[44:45], v[36:37], v[0:1]
	v_add_f64 v[36:37], v[8:9], -v[36:37]
	v_add_f64 v[46:47], v[14:15], v[2:3]
	v_add_f64 v[14:15], v[10:11], -v[14:15]
	;; [unrolled: 2-line block ×4, first 2 shown]
	v_mul_f64 v[22:23], v[22:23], s[14:15]
	v_mul_f64 v[26:27], v[26:27], s[10:11]
	;; [unrolled: 1-line block ×4, first 2 shown]
	v_add_f64 v[8:9], v[44:45], v[8:9]
	v_add_f64 v[10:11], v[46:47], v[10:11]
	;; [unrolled: 1-line block ×3, first 2 shown]
	v_add_f64 v[6:7], v[28:29], -v[30:31]
	v_mul_f64 v[28:29], v[20:21], s[4:5]
	v_mul_f64 v[30:31], v[40:41], s[14:15]
	v_add_f64 v[0:1], v[4:5], v[18:19]
	v_mul_f64 v[40:41], v[42:43], s[6:7]
	v_add_f64 v[4:5], v[32:33], -v[34:35]
	v_mul_f64 v[32:33], v[12:13], s[4:5]
	v_fma_f64 v[34:35], v[36:37], s[20:21], v[22:23]
	v_fma_f64 v[20:21], v[20:21], s[4:5], v[24:25]
	;; [unrolled: 1-line block ×3, first 2 shown]
	v_fma_f64 v[36:37], v[36:37], s[22:23], -v[48:49]
	v_fma_f64 v[22:23], v[38:39], s[6:7], -v[22:23]
	v_fma_f64 v[16:17], v[16:17], s[12:13], v[2:3]
	v_fma_f64 v[24:25], v[6:7], s[18:19], -v[24:25]
	v_fma_f64 v[6:7], v[6:7], s[16:17], -v[28:29]
	v_fma_f64 v[28:29], v[14:15], s[20:21], v[30:31]
	v_fma_f64 v[18:19], v[18:19], s[12:13], v[0:1]
	v_fma_f64 v[14:15], v[14:15], s[22:23], -v[40:41]
	v_fma_f64 v[26:27], v[4:5], s[18:19], -v[26:27]
	;; [unrolled: 1-line block ×4, first 2 shown]
	v_fma_f64 v[32:33], v[8:9], s[24:25], v[34:35]
	v_fma_f64 v[34:35], v[8:9], s[24:25], v[36:37]
	;; [unrolled: 1-line block ×3, first 2 shown]
	v_add_f64 v[20:21], v[20:21], v[16:17]
	v_add_f64 v[22:23], v[24:25], v[16:17]
	;; [unrolled: 1-line block ×3, first 2 shown]
	v_fma_f64 v[28:29], v[10:11], s[24:25], v[28:29]
	v_add_f64 v[38:39], v[12:13], v[18:19]
	v_fma_f64 v[36:37], v[10:11], s[24:25], v[14:15]
	v_add_f64 v[40:41], v[26:27], v[18:19]
	;; [unrolled: 2-line block ×3, first 2 shown]
	v_add_f64 v[26:27], v[20:21], -v[32:33]
	v_add_f64 v[6:7], v[32:33], v[20:21]
	v_add_f64 v[10:11], v[34:35], v[22:23]
	v_add_f64 v[22:23], v[22:23], -v[34:35]
	v_add_f64 v[24:25], v[28:29], v[38:39]
	v_add_f64 v[14:15], v[16:17], -v[8:9]
	v_add_f64 v[20:21], v[36:37], v[40:41]
	v_add_f64 v[18:19], v[8:9], v[16:17]
	v_add_f64 v[16:17], v[4:5], -v[30:31]
	v_add_f64 v[12:13], v[30:31], v[4:5]
	v_add_f64 v[8:9], v[40:41], -v[36:37]
	v_add_f64 v[4:5], v[38:39], -v[28:29]
	ds_write_b128 v60, v[0:3] offset:2016
	ds_write_b128 v60, v[24:27] offset:4608
	;; [unrolled: 1-line block ×7, first 2 shown]
.LBB0_19:
	s_or_b32 exec_lo, exec_lo, s1
	s_waitcnt lgkmcnt(0)
	s_barrier
	buffer_gl0_inv
	s_and_saveexec_b32 s0, vcc_lo
	s_cbranch_execz .LBB0_21
; %bb.20:
	v_mov_b32_e32 v57, 0
	ds_read_b128 v[0:3], v60
	ds_read_b128 v[4:7], v60 offset:2016
	ds_read_b128 v[8:11], v60 offset:4032
	;; [unrolled: 1-line block ×3, first 2 shown]
	v_add_co_u32 v18, vcc_lo, s2, v58
	v_add_co_ci_u32_e32 v19, vcc_lo, s3, v59, vcc_lo
	v_lshlrev_b64 v[16:17], 4, v[56:57]
	v_add_co_u32 v20, vcc_lo, v18, v16
	v_add_co_ci_u32_e32 v21, vcc_lo, v19, v17, vcc_lo
	v_add_co_u32 v16, vcc_lo, 0x800, v20
	v_add_co_ci_u32_e32 v17, vcc_lo, 0, v21, vcc_lo
	;; [unrolled: 2-line block ×3, first 2 shown]
	s_waitcnt lgkmcnt(3)
	global_store_dwordx4 v[20:21], v[0:3], off
	s_waitcnt lgkmcnt(2)
	global_store_dwordx4 v[20:21], v[4:7], off offset:2016
	s_waitcnt lgkmcnt(1)
	global_store_dwordx4 v[16:17], v[8:11], off offset:1984
	;; [unrolled: 2-line block ×3, first 2 shown]
	ds_read_b128 v[0:3], v60 offset:8064
	ds_read_b128 v[4:7], v60 offset:10080
	;; [unrolled: 1-line block ×5, first 2 shown]
	v_add_co_u32 v22, vcc_lo, 0x1800, v20
	v_add_co_ci_u32_e32 v23, vcc_lo, 0, v21, vcc_lo
	v_add_co_u32 v24, vcc_lo, 0x2000, v20
	v_add_co_ci_u32_e32 v25, vcc_lo, 0, v21, vcc_lo
	;; [unrolled: 2-line block ×5, first 2 shown]
	s_waitcnt lgkmcnt(4)
	global_store_dwordx4 v[22:23], v[0:3], off offset:1920
	s_waitcnt lgkmcnt(3)
	global_store_dwordx4 v[24:25], v[4:7], off offset:1888
	;; [unrolled: 2-line block ×5, first 2 shown]
.LBB0_21:
	s_endpgm
	.section	.rodata,"a",@progbits
	.p2align	6, 0x0
	.amdhsa_kernel fft_rtc_back_len1134_factors_2_3_3_3_3_7_wgs_126_tpt_126_dp_ip_CI_unitstride_sbrr_dirReg
		.amdhsa_group_segment_fixed_size 0
		.amdhsa_private_segment_fixed_size 0
		.amdhsa_kernarg_size 88
		.amdhsa_user_sgpr_count 6
		.amdhsa_user_sgpr_private_segment_buffer 1
		.amdhsa_user_sgpr_dispatch_ptr 0
		.amdhsa_user_sgpr_queue_ptr 0
		.amdhsa_user_sgpr_kernarg_segment_ptr 1
		.amdhsa_user_sgpr_dispatch_id 0
		.amdhsa_user_sgpr_flat_scratch_init 0
		.amdhsa_user_sgpr_private_segment_size 0
		.amdhsa_wavefront_size32 1
		.amdhsa_uses_dynamic_stack 0
		.amdhsa_system_sgpr_private_segment_wavefront_offset 0
		.amdhsa_system_sgpr_workgroup_id_x 1
		.amdhsa_system_sgpr_workgroup_id_y 0
		.amdhsa_system_sgpr_workgroup_id_z 0
		.amdhsa_system_sgpr_workgroup_info 0
		.amdhsa_system_vgpr_workitem_id 0
		.amdhsa_next_free_vgpr 98
		.amdhsa_next_free_sgpr 26
		.amdhsa_reserve_vcc 1
		.amdhsa_reserve_flat_scratch 0
		.amdhsa_float_round_mode_32 0
		.amdhsa_float_round_mode_16_64 0
		.amdhsa_float_denorm_mode_32 3
		.amdhsa_float_denorm_mode_16_64 3
		.amdhsa_dx10_clamp 1
		.amdhsa_ieee_mode 1
		.amdhsa_fp16_overflow 0
		.amdhsa_workgroup_processor_mode 1
		.amdhsa_memory_ordered 1
		.amdhsa_forward_progress 0
		.amdhsa_shared_vgpr_count 0
		.amdhsa_exception_fp_ieee_invalid_op 0
		.amdhsa_exception_fp_denorm_src 0
		.amdhsa_exception_fp_ieee_div_zero 0
		.amdhsa_exception_fp_ieee_overflow 0
		.amdhsa_exception_fp_ieee_underflow 0
		.amdhsa_exception_fp_ieee_inexact 0
		.amdhsa_exception_int_div_zero 0
	.end_amdhsa_kernel
	.text
.Lfunc_end0:
	.size	fft_rtc_back_len1134_factors_2_3_3_3_3_7_wgs_126_tpt_126_dp_ip_CI_unitstride_sbrr_dirReg, .Lfunc_end0-fft_rtc_back_len1134_factors_2_3_3_3_3_7_wgs_126_tpt_126_dp_ip_CI_unitstride_sbrr_dirReg
                                        ; -- End function
	.section	.AMDGPU.csdata,"",@progbits
; Kernel info:
; codeLenInByte = 8672
; NumSgprs: 28
; NumVgprs: 98
; ScratchSize: 0
; MemoryBound: 0
; FloatMode: 240
; IeeeMode: 1
; LDSByteSize: 0 bytes/workgroup (compile time only)
; SGPRBlocks: 3
; VGPRBlocks: 12
; NumSGPRsForWavesPerEU: 28
; NumVGPRsForWavesPerEU: 98
; Occupancy: 9
; WaveLimiterHint : 1
; COMPUTE_PGM_RSRC2:SCRATCH_EN: 0
; COMPUTE_PGM_RSRC2:USER_SGPR: 6
; COMPUTE_PGM_RSRC2:TRAP_HANDLER: 0
; COMPUTE_PGM_RSRC2:TGID_X_EN: 1
; COMPUTE_PGM_RSRC2:TGID_Y_EN: 0
; COMPUTE_PGM_RSRC2:TGID_Z_EN: 0
; COMPUTE_PGM_RSRC2:TIDIG_COMP_CNT: 0
	.text
	.p2alignl 6, 3214868480
	.fill 48, 4, 3214868480
	.type	__hip_cuid_baf94d7dee888605,@object ; @__hip_cuid_baf94d7dee888605
	.section	.bss,"aw",@nobits
	.globl	__hip_cuid_baf94d7dee888605
__hip_cuid_baf94d7dee888605:
	.byte	0                               ; 0x0
	.size	__hip_cuid_baf94d7dee888605, 1

	.ident	"AMD clang version 19.0.0git (https://github.com/RadeonOpenCompute/llvm-project roc-6.4.0 25133 c7fe45cf4b819c5991fe208aaa96edf142730f1d)"
	.section	".note.GNU-stack","",@progbits
	.addrsig
	.addrsig_sym __hip_cuid_baf94d7dee888605
	.amdgpu_metadata
---
amdhsa.kernels:
  - .args:
      - .actual_access:  read_only
        .address_space:  global
        .offset:         0
        .size:           8
        .value_kind:     global_buffer
      - .offset:         8
        .size:           8
        .value_kind:     by_value
      - .actual_access:  read_only
        .address_space:  global
        .offset:         16
        .size:           8
        .value_kind:     global_buffer
      - .actual_access:  read_only
        .address_space:  global
        .offset:         24
        .size:           8
        .value_kind:     global_buffer
      - .offset:         32
        .size:           8
        .value_kind:     by_value
      - .actual_access:  read_only
        .address_space:  global
        .offset:         40
        .size:           8
        .value_kind:     global_buffer
      - .actual_access:  read_only
        .address_space:  global
        .offset:         48
        .size:           8
        .value_kind:     global_buffer
      - .offset:         56
        .size:           4
        .value_kind:     by_value
      - .actual_access:  read_only
        .address_space:  global
        .offset:         64
        .size:           8
        .value_kind:     global_buffer
      - .actual_access:  read_only
        .address_space:  global
        .offset:         72
        .size:           8
        .value_kind:     global_buffer
      - .address_space:  global
        .offset:         80
        .size:           8
        .value_kind:     global_buffer
    .group_segment_fixed_size: 0
    .kernarg_segment_align: 8
    .kernarg_segment_size: 88
    .language:       OpenCL C
    .language_version:
      - 2
      - 0
    .max_flat_workgroup_size: 126
    .name:           fft_rtc_back_len1134_factors_2_3_3_3_3_7_wgs_126_tpt_126_dp_ip_CI_unitstride_sbrr_dirReg
    .private_segment_fixed_size: 0
    .sgpr_count:     28
    .sgpr_spill_count: 0
    .symbol:         fft_rtc_back_len1134_factors_2_3_3_3_3_7_wgs_126_tpt_126_dp_ip_CI_unitstride_sbrr_dirReg.kd
    .uniform_work_group_size: 1
    .uses_dynamic_stack: false
    .vgpr_count:     98
    .vgpr_spill_count: 0
    .wavefront_size: 32
    .workgroup_processor_mode: 1
amdhsa.target:   amdgcn-amd-amdhsa--gfx1030
amdhsa.version:
  - 1
  - 2
...

	.end_amdgpu_metadata
